;; amdgpu-corpus repo=ROCm/rocFFT kind=compiled arch=gfx1030 opt=O3
	.text
	.amdgcn_target "amdgcn-amd-amdhsa--gfx1030"
	.amdhsa_code_object_version 6
	.protected	fft_rtc_back_len910_factors_13_2_7_5_wgs_182_tpt_91_sp_op_CI_CI_unitstride_sbrr_dirReg ; -- Begin function fft_rtc_back_len910_factors_13_2_7_5_wgs_182_tpt_91_sp_op_CI_CI_unitstride_sbrr_dirReg
	.globl	fft_rtc_back_len910_factors_13_2_7_5_wgs_182_tpt_91_sp_op_CI_CI_unitstride_sbrr_dirReg
	.p2align	8
	.type	fft_rtc_back_len910_factors_13_2_7_5_wgs_182_tpt_91_sp_op_CI_CI_unitstride_sbrr_dirReg,@function
fft_rtc_back_len910_factors_13_2_7_5_wgs_182_tpt_91_sp_op_CI_CI_unitstride_sbrr_dirReg: ; @fft_rtc_back_len910_factors_13_2_7_5_wgs_182_tpt_91_sp_op_CI_CI_unitstride_sbrr_dirReg
; %bb.0:
	s_clause 0x2
	s_load_dwordx4 s[12:15], s[4:5], 0x0
	s_load_dwordx4 s[8:11], s[4:5], 0x58
	;; [unrolled: 1-line block ×3, first 2 shown]
	v_mul_u32_u24_e32 v1, 0x2d1, v0
	v_mov_b32_e32 v4, 0
	v_mov_b32_e32 v5, 0
	v_lshrrev_b32_e32 v45, 16, v1
	v_mov_b32_e32 v1, 0
	v_lshl_add_u32 v6, s6, 1, v45
	v_mov_b32_e32 v7, v1
	s_waitcnt lgkmcnt(0)
	v_cmp_lt_u64_e64 s0, s[14:15], 2
	s_and_b32 vcc_lo, exec_lo, s0
	s_cbranch_vccnz .LBB0_8
; %bb.1:
	s_load_dwordx2 s[0:1], s[4:5], 0x10
	v_mov_b32_e32 v4, 0
	v_mov_b32_e32 v5, 0
	s_add_u32 s2, s18, 8
	s_addc_u32 s3, s19, 0
	s_add_u32 s6, s16, 8
	s_addc_u32 s7, s17, 0
	v_mov_b32_e32 v25, v5
	v_mov_b32_e32 v24, v4
	s_mov_b64 s[22:23], 1
	s_waitcnt lgkmcnt(0)
	s_add_u32 s20, s0, 8
	s_addc_u32 s21, s1, 0
.LBB0_2:                                ; =>This Inner Loop Header: Depth=1
	s_load_dwordx2 s[24:25], s[20:21], 0x0
                                        ; implicit-def: $vgpr28_vgpr29
	s_mov_b32 s0, exec_lo
	s_waitcnt lgkmcnt(0)
	v_or_b32_e32 v2, s25, v7
	v_cmpx_ne_u64_e32 0, v[1:2]
	s_xor_b32 s1, exec_lo, s0
	s_cbranch_execz .LBB0_4
; %bb.3:                                ;   in Loop: Header=BB0_2 Depth=1
	v_cvt_f32_u32_e32 v2, s24
	v_cvt_f32_u32_e32 v3, s25
	s_sub_u32 s0, 0, s24
	s_subb_u32 s26, 0, s25
	v_fmac_f32_e32 v2, 0x4f800000, v3
	v_rcp_f32_e32 v2, v2
	v_mul_f32_e32 v2, 0x5f7ffffc, v2
	v_mul_f32_e32 v3, 0x2f800000, v2
	v_trunc_f32_e32 v3, v3
	v_fmac_f32_e32 v2, 0xcf800000, v3
	v_cvt_u32_f32_e32 v3, v3
	v_cvt_u32_f32_e32 v2, v2
	v_mul_lo_u32 v8, s0, v3
	v_mul_hi_u32 v9, s0, v2
	v_mul_lo_u32 v10, s26, v2
	v_add_nc_u32_e32 v8, v9, v8
	v_mul_lo_u32 v9, s0, v2
	v_add_nc_u32_e32 v8, v8, v10
	v_mul_hi_u32 v10, v2, v9
	v_mul_lo_u32 v11, v2, v8
	v_mul_hi_u32 v12, v2, v8
	v_mul_hi_u32 v13, v3, v9
	v_mul_lo_u32 v9, v3, v9
	v_mul_hi_u32 v14, v3, v8
	v_mul_lo_u32 v8, v3, v8
	v_add_co_u32 v10, vcc_lo, v10, v11
	v_add_co_ci_u32_e32 v11, vcc_lo, 0, v12, vcc_lo
	v_add_co_u32 v9, vcc_lo, v10, v9
	v_add_co_ci_u32_e32 v9, vcc_lo, v11, v13, vcc_lo
	v_add_co_ci_u32_e32 v10, vcc_lo, 0, v14, vcc_lo
	v_add_co_u32 v8, vcc_lo, v9, v8
	v_add_co_ci_u32_e32 v9, vcc_lo, 0, v10, vcc_lo
	v_add_co_u32 v2, vcc_lo, v2, v8
	v_add_co_ci_u32_e32 v3, vcc_lo, v3, v9, vcc_lo
	v_mul_hi_u32 v8, s0, v2
	v_mul_lo_u32 v10, s26, v2
	v_mul_lo_u32 v9, s0, v3
	v_add_nc_u32_e32 v8, v8, v9
	v_mul_lo_u32 v9, s0, v2
	v_add_nc_u32_e32 v8, v8, v10
	v_mul_hi_u32 v10, v2, v9
	v_mul_lo_u32 v11, v2, v8
	v_mul_hi_u32 v12, v2, v8
	v_mul_hi_u32 v13, v3, v9
	v_mul_lo_u32 v9, v3, v9
	v_mul_hi_u32 v14, v3, v8
	v_mul_lo_u32 v8, v3, v8
	v_add_co_u32 v10, vcc_lo, v10, v11
	v_add_co_ci_u32_e32 v11, vcc_lo, 0, v12, vcc_lo
	v_add_co_u32 v9, vcc_lo, v10, v9
	v_add_co_ci_u32_e32 v9, vcc_lo, v11, v13, vcc_lo
	v_add_co_ci_u32_e32 v10, vcc_lo, 0, v14, vcc_lo
	v_add_co_u32 v8, vcc_lo, v9, v8
	v_add_co_ci_u32_e32 v9, vcc_lo, 0, v10, vcc_lo
	v_add_co_u32 v8, vcc_lo, v2, v8
	v_add_co_ci_u32_e32 v10, vcc_lo, v3, v9, vcc_lo
	v_mul_hi_u32 v12, v6, v8
	v_mad_u64_u32 v[8:9], null, v7, v8, 0
	v_mad_u64_u32 v[2:3], null, v6, v10, 0
	v_mad_u64_u32 v[10:11], null, v7, v10, 0
	v_add_co_u32 v2, vcc_lo, v12, v2
	v_add_co_ci_u32_e32 v3, vcc_lo, 0, v3, vcc_lo
	v_add_co_u32 v2, vcc_lo, v2, v8
	v_add_co_ci_u32_e32 v2, vcc_lo, v3, v9, vcc_lo
	v_add_co_ci_u32_e32 v3, vcc_lo, 0, v11, vcc_lo
	v_add_co_u32 v8, vcc_lo, v2, v10
	v_add_co_ci_u32_e32 v9, vcc_lo, 0, v3, vcc_lo
	v_mul_lo_u32 v10, s25, v8
	v_mad_u64_u32 v[2:3], null, s24, v8, 0
	v_mul_lo_u32 v11, s24, v9
	v_sub_co_u32 v2, vcc_lo, v6, v2
	v_add3_u32 v3, v3, v11, v10
	v_sub_nc_u32_e32 v10, v7, v3
	v_subrev_co_ci_u32_e64 v10, s0, s25, v10, vcc_lo
	v_add_co_u32 v11, s0, v8, 2
	v_add_co_ci_u32_e64 v12, s0, 0, v9, s0
	v_sub_co_u32 v13, s0, v2, s24
	v_sub_co_ci_u32_e32 v3, vcc_lo, v7, v3, vcc_lo
	v_subrev_co_ci_u32_e64 v10, s0, 0, v10, s0
	v_cmp_le_u32_e32 vcc_lo, s24, v13
	v_cmp_eq_u32_e64 s0, s25, v3
	v_cndmask_b32_e64 v13, 0, -1, vcc_lo
	v_cmp_le_u32_e32 vcc_lo, s25, v10
	v_cndmask_b32_e64 v14, 0, -1, vcc_lo
	v_cmp_le_u32_e32 vcc_lo, s24, v2
	;; [unrolled: 2-line block ×3, first 2 shown]
	v_cndmask_b32_e64 v15, 0, -1, vcc_lo
	v_cmp_eq_u32_e32 vcc_lo, s25, v10
	v_cndmask_b32_e64 v2, v15, v2, s0
	v_cndmask_b32_e32 v10, v14, v13, vcc_lo
	v_add_co_u32 v13, vcc_lo, v8, 1
	v_add_co_ci_u32_e32 v14, vcc_lo, 0, v9, vcc_lo
	v_cmp_ne_u32_e32 vcc_lo, 0, v10
	v_cndmask_b32_e32 v3, v14, v12, vcc_lo
	v_cndmask_b32_e32 v10, v13, v11, vcc_lo
	v_cmp_ne_u32_e32 vcc_lo, 0, v2
	v_cndmask_b32_e32 v29, v9, v3, vcc_lo
	v_cndmask_b32_e32 v28, v8, v10, vcc_lo
.LBB0_4:                                ;   in Loop: Header=BB0_2 Depth=1
	s_andn2_saveexec_b32 s0, s1
	s_cbranch_execz .LBB0_6
; %bb.5:                                ;   in Loop: Header=BB0_2 Depth=1
	v_cvt_f32_u32_e32 v2, s24
	s_sub_i32 s1, 0, s24
	v_mov_b32_e32 v29, v1
	v_rcp_iflag_f32_e32 v2, v2
	v_mul_f32_e32 v2, 0x4f7ffffe, v2
	v_cvt_u32_f32_e32 v2, v2
	v_mul_lo_u32 v3, s1, v2
	v_mul_hi_u32 v3, v2, v3
	v_add_nc_u32_e32 v2, v2, v3
	v_mul_hi_u32 v2, v6, v2
	v_mul_lo_u32 v3, v2, s24
	v_add_nc_u32_e32 v8, 1, v2
	v_sub_nc_u32_e32 v3, v6, v3
	v_subrev_nc_u32_e32 v9, s24, v3
	v_cmp_le_u32_e32 vcc_lo, s24, v3
	v_cndmask_b32_e32 v3, v3, v9, vcc_lo
	v_cndmask_b32_e32 v2, v2, v8, vcc_lo
	v_cmp_le_u32_e32 vcc_lo, s24, v3
	v_add_nc_u32_e32 v8, 1, v2
	v_cndmask_b32_e32 v28, v2, v8, vcc_lo
.LBB0_6:                                ;   in Loop: Header=BB0_2 Depth=1
	s_or_b32 exec_lo, exec_lo, s0
	v_mul_lo_u32 v8, v29, s24
	v_mul_lo_u32 v9, v28, s25
	s_load_dwordx2 s[0:1], s[6:7], 0x0
	v_mad_u64_u32 v[2:3], null, v28, s24, 0
	s_load_dwordx2 s[24:25], s[2:3], 0x0
	s_add_u32 s22, s22, 1
	s_addc_u32 s23, s23, 0
	s_add_u32 s2, s2, 8
	s_addc_u32 s3, s3, 0
	s_add_u32 s6, s6, 8
	v_add3_u32 v3, v3, v9, v8
	v_sub_co_u32 v2, vcc_lo, v6, v2
	s_addc_u32 s7, s7, 0
	s_add_u32 s20, s20, 8
	v_sub_co_ci_u32_e32 v3, vcc_lo, v7, v3, vcc_lo
	s_addc_u32 s21, s21, 0
	s_waitcnt lgkmcnt(0)
	v_mul_lo_u32 v6, s0, v3
	v_mul_lo_u32 v7, s1, v2
	v_mad_u64_u32 v[4:5], null, s0, v2, v[4:5]
	v_mul_lo_u32 v3, s24, v3
	v_mul_lo_u32 v8, s25, v2
	v_mad_u64_u32 v[24:25], null, s24, v2, v[24:25]
	v_cmp_ge_u64_e64 s0, s[22:23], s[14:15]
	v_add3_u32 v5, v7, v5, v6
	v_add3_u32 v25, v8, v25, v3
	s_and_b32 vcc_lo, exec_lo, s0
	s_cbranch_vccnz .LBB0_9
; %bb.7:                                ;   in Loop: Header=BB0_2 Depth=1
	v_mov_b32_e32 v6, v28
	v_mov_b32_e32 v7, v29
	s_branch .LBB0_2
.LBB0_8:
	v_mov_b32_e32 v25, v5
	v_mov_b32_e32 v29, v7
	;; [unrolled: 1-line block ×4, first 2 shown]
.LBB0_9:
	s_load_dwordx2 s[0:1], s[4:5], 0x28
	v_mul_hi_u32 v1, 0x2d02d03, v0
	s_lshl_b64 s[4:5], s[14:15], 3
	v_mov_b32_e32 v3, 0
	v_mov_b32_e32 v2, 0
	s_add_u32 s2, s18, s4
	s_addc_u32 s3, s19, s5
                                        ; implicit-def: $vgpr9
                                        ; implicit-def: $vgpr11
                                        ; implicit-def: $vgpr13
                                        ; implicit-def: $vgpr37
                                        ; implicit-def: $vgpr35
                                        ; implicit-def: $vgpr33
                                        ; implicit-def: $vgpr31
                                        ; implicit-def: $vgpr21
                                        ; implicit-def: $vgpr19
                                        ; implicit-def: $vgpr17
                                        ; implicit-def: $vgpr15
                                        ; implicit-def: $vgpr23
	v_mul_u32_u24_e32 v1, 0x5b, v1
	v_sub_nc_u32_e32 v26, v0, v1
	s_waitcnt lgkmcnt(0)
	v_cmp_gt_u64_e32 vcc_lo, s[0:1], v[28:29]
	v_cmp_gt_u32_e64 s0, 0x46, v26
	s_and_b32 s1, vcc_lo, s0
	s_and_saveexec_b32 s6, s1
	s_cbranch_execz .LBB0_11
; %bb.10:
	s_add_u32 s4, s16, s4
	s_addc_u32 s5, s17, s5
	v_mov_b32_e32 v27, 0
	s_load_dwordx2 s[4:5], s[4:5], 0x0
	s_waitcnt lgkmcnt(0)
	v_mul_lo_u32 v2, s5, v28
	v_mul_lo_u32 v3, s4, v29
	v_mad_u64_u32 v[0:1], null, s4, v28, 0
	v_add3_u32 v1, v1, v3, v2
	v_lshlrev_b64 v[2:3], 3, v[4:5]
	v_lshlrev_b64 v[0:1], 3, v[0:1]
	v_add_co_u32 v4, s1, s8, v0
	v_add_co_ci_u32_e64 v5, s1, s9, v1, s1
	v_lshlrev_b64 v[0:1], 3, v[26:27]
	v_add_co_u32 v2, s1, v4, v2
	v_add_co_ci_u32_e64 v3, s1, v5, v3, s1
	v_add_co_u32 v0, s1, v2, v0
	v_add_co_ci_u32_e64 v1, s1, v3, v1, s1
	s_clause 0x3
	global_load_dwordx2 v[2:3], v[0:1], off
	global_load_dwordx2 v[8:9], v[0:1], off offset:560
	global_load_dwordx2 v[10:11], v[0:1], off offset:1120
	;; [unrolled: 1-line block ×3, first 2 shown]
	v_add_co_u32 v4, s1, 0x800, v0
	v_add_co_ci_u32_e64 v5, s1, 0, v1, s1
	v_add_co_u32 v6, s1, 0x1000, v0
	v_add_co_ci_u32_e64 v7, s1, 0, v1, s1
	v_add_co_u32 v0, s1, 0x1800, v0
	v_add_co_ci_u32_e64 v1, s1, 0, v1, s1
	s_clause 0x8
	global_load_dwordx2 v[36:37], v[4:5], off offset:192
	global_load_dwordx2 v[34:35], v[4:5], off offset:752
	;; [unrolled: 1-line block ×9, first 2 shown]
.LBB0_11:
	s_or_b32 exec_lo, exec_lo, s6
	s_waitcnt vmcnt(0)
	v_sub_f32_e32 v58, v9, v15
	v_add_f32_e32 v51, v8, v14
	v_sub_f32_e32 v62, v11, v17
	v_sub_f32_e32 v89, v8, v14
	v_add_f32_e32 v53, v10, v16
	v_mul_f32_e32 v38, 0xbeedf032, v58
	v_sub_f32_e32 v63, v13, v23
	v_mul_f32_e32 v40, 0xbf52af12, v62
	v_add_f32_e32 v52, v9, v15
	v_mul_f32_e32 v39, 0xbeedf032, v89
	v_fma_f32 v0, 0x3f62ad3f, v51, -v38
	v_sub_f32_e32 v84, v10, v16
	v_fma_f32 v4, 0x3f116cb1, v53, -v40
	v_add_f32_e32 v55, v12, v22
	v_mul_f32_e32 v42, 0xbf7e222b, v63
	v_add_f32_e32 v0, v2, v0
	v_sub_f32_e32 v70, v37, v19
	v_mul_f32_e32 v78, 0xbf52af12, v89
	v_fmamk_f32 v1, v52, 0x3f62ad3f, v39
	v_add_f32_e32 v54, v11, v17
	v_mul_f32_e32 v41, 0xbf52af12, v84
	v_sub_f32_e32 v88, v12, v22
	v_add_f32_e32 v0, v4, v0
	v_fma_f32 v4, 0x3df6dbef, v55, -v42
	v_add_f32_e32 v57, v36, v18
	v_mul_f32_e32 v44, 0xbf6f5d39, v70
	v_sub_f32_e32 v76, v35, v21
	v_fmamk_f32 v7, v52, 0x3f116cb1, v78
	v_mul_f32_e32 v80, 0xbf6f5d39, v84
	v_add_f32_e32 v1, v3, v1
	v_fmamk_f32 v5, v54, 0x3f116cb1, v41
	v_add_f32_e32 v56, v13, v23
	v_mul_f32_e32 v43, 0xbf7e222b, v88
	v_sub_f32_e32 v91, v36, v18
	v_add_f32_e32 v0, v0, v4
	v_fma_f32 v4, 0xbeb58ec6, v57, -v44
	v_add_f32_e32 v64, v34, v20
	v_mul_f32_e32 v47, 0xbf29c268, v76
	v_sub_f32_e32 v79, v33, v31
	v_add_f32_e32 v7, v3, v7
	v_fmamk_f32 v60, v54, 0xbeb58ec6, v80
	v_mul_f32_e32 v74, 0xbe750f2a, v88
	v_add_f32_e32 v1, v5, v1
	v_fmamk_f32 v5, v56, 0x3df6dbef, v43
	v_add_f32_e32 v59, v37, v19
	v_mul_f32_e32 v46, 0xbf6f5d39, v91
	v_sub_f32_e32 v97, v34, v20
	v_add_f32_e32 v0, v4, v0
	v_fma_f32 v4, 0xbf3f9e67, v64, -v47
	v_add_f32_e32 v66, v32, v30
	v_mul_f32_e32 v49, 0xbe750f2a, v79
	v_add_f32_e32 v7, v60, v7
	v_fmamk_f32 v61, v56, 0xbf788fa5, v74
	v_mul_f32_e32 v75, 0x3f29c268, v91
	v_add_f32_e32 v1, v1, v5
	v_fmamk_f32 v5, v59, 0xbeb58ec6, v46
	v_add_f32_e32 v65, v35, v21
	v_mul_f32_e32 v48, 0xbf29c268, v97
	v_add_f32_e32 v0, v4, v0
	v_fma_f32 v4, 0xbf788fa5, v66, -v49
	v_add_f32_e32 v7, v7, v61
	v_fmamk_f32 v61, v59, 0xbf3f9e67, v75
	v_mul_f32_e32 v77, 0x3f7e222b, v97
	v_add_f32_e32 v1, v5, v1
	v_fmamk_f32 v5, v65, 0xbf3f9e67, v48
	v_mul_f32_e32 v72, 0xbf52af12, v58
	v_add_f32_e32 v0, v4, v0
	v_add_f32_e32 v4, v61, v7
	v_fmamk_f32 v7, v65, 0x3df6dbef, v77
	v_mul_f32_e32 v83, 0xbf7e222b, v58
	v_mul_f32_e32 v94, 0xbf7e222b, v89
	v_add_f32_e32 v1, v5, v1
	v_fma_f32 v5, 0x3f116cb1, v51, -v72
	v_mul_f32_e32 v68, 0xbf6f5d39, v62
	v_add_f32_e32 v4, v7, v4
	v_fma_f32 v7, 0x3df6dbef, v51, -v83
	v_mul_f32_e32 v87, 0xbe750f2a, v62
	v_fmamk_f32 v81, v52, 0x3df6dbef, v94
	v_mul_f32_e32 v96, 0xbe750f2a, v84
	v_add_f32_e32 v5, v2, v5
	v_fma_f32 v27, 0xbeb58ec6, v53, -v68
	v_mul_f32_e32 v71, 0xbe750f2a, v63
	v_add_f32_e32 v7, v2, v7
	v_fma_f32 v82, 0xbf788fa5, v53, -v87
	v_mul_f32_e32 v86, 0x3f6f5d39, v63
	v_add_f32_e32 v81, v3, v81
	v_fmamk_f32 v90, v54, 0xbf788fa5, v96
	v_mul_f32_e32 v95, 0x3f6f5d39, v88
	v_sub_f32_e32 v98, v32, v30
	v_add_f32_e32 v5, v27, v5
	v_fma_f32 v27, 0xbf788fa5, v55, -v71
	v_mul_f32_e32 v73, 0x3f29c268, v70
	v_add_f32_e32 v7, v82, v7
	v_fma_f32 v82, 0xbeb58ec6, v55, -v86
	v_mul_f32_e32 v85, 0x3eedf032, v70
	v_add_f32_e32 v90, v90, v81
	v_fmamk_f32 v92, v56, 0xbeb58ec6, v95
	v_mul_f32_e32 v93, 0x3eedf032, v91
	v_add_f32_e32 v69, v33, v31
	v_mul_f32_e32 v50, 0xbe750f2a, v98
	v_add_f32_e32 v5, v5, v27
	v_fma_f32 v27, 0xbf3f9e67, v57, -v73
	v_mul_f32_e32 v60, 0x3f7e222b, v76
	v_add_f32_e32 v7, v7, v82
	v_fma_f32 v82, 0x3f62ad3f, v57, -v85
	v_mul_f32_e32 v81, 0xbf52af12, v76
	v_add_f32_e32 v90, v90, v92
	v_fmamk_f32 v99, v59, 0x3f62ad3f, v93
	v_mul_f32_e32 v92, 0xbf52af12, v97
	v_and_b32_e32 v45, 1, v45
	v_fmamk_f32 v6, v69, 0xbf788fa5, v50
	v_add_f32_e32 v5, v27, v5
	v_fma_f32 v27, 0x3df6dbef, v64, -v60
	v_mul_f32_e32 v61, 0x3eedf032, v79
	v_mul_f32_e32 v67, 0x3eedf032, v98
	v_add_f32_e32 v7, v82, v7
	v_fma_f32 v100, 0x3f116cb1, v64, -v81
	v_mul_f32_e32 v82, 0xbf29c268, v79
	v_add_f32_e32 v99, v99, v90
	v_fmamk_f32 v101, v65, 0x3f116cb1, v92
	v_mul_f32_e32 v90, 0xbf29c268, v98
	v_cmp_eq_u32_e64 s1, 1, v45
	v_add_f32_e32 v1, v6, v1
	v_add_f32_e32 v5, v27, v5
	v_fma_f32 v6, 0x3f62ad3f, v66, -v61
	v_fmamk_f32 v27, v69, 0x3f62ad3f, v67
	v_add_f32_e32 v100, v100, v7
	v_fma_f32 v102, 0xbf3f9e67, v66, -v82
	v_add_f32_e32 v99, v101, v99
	v_fmamk_f32 v101, v69, 0xbf3f9e67, v90
	v_cndmask_b32_e64 v45, 0, 0x38e, s1
	v_add_f32_e32 v6, v6, v5
	v_add_f32_e32 v7, v27, v4
	v_add_f32_e32 v4, v102, v100
	v_add_f32_e32 v5, v101, v99
	v_lshlrev_b32_e32 v27, 3, v45
	s_and_saveexec_b32 s1, s0
	s_cbranch_execz .LBB0_13
; %bb.12:
	v_mul_f32_e32 v45, 0xbf6f5d39, v89
	v_mul_f32_e32 v101, 0xbeb58ec6, v51
	;; [unrolled: 1-line block ×5, first 2 shown]
	v_fmamk_f32 v99, v52, 0xbeb58ec6, v45
	v_fmamk_f32 v100, v58, 0x3f6f5d39, v101
	v_mul_f32_e32 v105, 0x3f62ad3f, v55
	v_fmamk_f32 v107, v54, 0xbf3f9e67, v102
	v_fmamk_f32 v108, v62, 0xbf29c268, v103
	v_add_f32_e32 v99, v3, v99
	v_add_f32_e32 v100, v2, v100
	v_mul_f32_e32 v106, 0xbf7e222b, v91
	v_mul_f32_e32 v109, 0x3df6dbef, v57
	v_fmamk_f32 v110, v56, 0x3f62ad3f, v104
	v_add_f32_e32 v99, v107, v99
	v_fmamk_f32 v107, v63, 0xbeedf032, v105
	v_add_f32_e32 v100, v108, v100
	v_fmamk_f32 v108, v59, 0x3df6dbef, v106
	v_fmamk_f32 v111, v70, 0x3f7e222b, v109
	v_add_f32_e32 v99, v99, v110
	v_mul_f32_e32 v110, 0xbf788fa5, v64
	v_add_f32_e32 v100, v100, v107
	v_mul_f32_e32 v107, 0x3e750f2a, v97
	v_mul_f32_e32 v116, 0x3eedf032, v84
	v_add_f32_e32 v99, v108, v99
	v_mul_f32_e32 v108, 0xbe750f2a, v89
	v_add_f32_e32 v100, v111, v100
	v_fmamk_f32 v111, v65, 0xbf788fa5, v107
	v_fmamk_f32 v112, v76, 0xbe750f2a, v110
	v_mul_f32_e32 v117, 0xbf29c268, v88
	v_fmamk_f32 v115, v52, 0xbf788fa5, v108
	v_mul_f32_e32 v120, 0x3f62ad3f, v53
	v_add_f32_e32 v99, v111, v99
	v_add_f32_e32 v111, v112, v100
	v_mul_f32_e32 v112, 0xbf788fa5, v51
	v_add_f32_e32 v100, v3, v115
	v_fmamk_f32 v115, v54, 0x3f62ad3f, v116
	v_mul_f32_e32 v113, 0x3f52af12, v98
	v_mul_f32_e32 v121, 0x3f52af12, v91
	v_fmamk_f32 v119, v58, 0x3e750f2a, v112
	v_fmamk_f32 v122, v62, 0xbeedf032, v120
	v_add_f32_e32 v100, v115, v100
	v_fmamk_f32 v115, v56, 0xbf3f9e67, v117
	v_mul_f32_e32 v123, 0xbf3f9e67, v55
	v_add_f32_e32 v119, v2, v119
	v_mul_f32_e32 v114, 0x3f116cb1, v66
	v_fmamk_f32 v118, v69, 0x3f116cb1, v113
	v_add_f32_e32 v115, v100, v115
	v_fmamk_f32 v125, v59, 0x3f116cb1, v121
	v_add_f32_e32 v119, v122, v119
	v_fmamk_f32 v122, v63, 0x3f29c268, v123
	v_mul_f32_e32 v126, 0x3f116cb1, v57
	v_fmamk_f32 v124, v79, 0xbf52af12, v114
	v_add_f32_e32 v100, v118, v99
	v_mul_f32_e32 v118, 0xbf6f5d39, v97
	v_add_f32_e32 v115, v125, v115
	v_add_f32_e32 v119, v119, v122
	v_fmamk_f32 v122, v70, 0xbf52af12, v126
	v_mul_f32_e32 v125, 0xbeb58ec6, v64
	v_fmamk_f32 v127, v65, 0xbeb58ec6, v118
	v_mul_f32_e32 v128, 0x3f7e222b, v98
	v_add_f32_e32 v99, v124, v111
	v_add_f32_e32 v111, v122, v119
	v_fmamk_f32 v119, v76, 0x3f6f5d39, v125
	v_add_f32_e32 v115, v127, v115
	v_fmamk_f32 v122, v69, 0x3df6dbef, v128
	v_mul_f32_e32 v127, 0xbf29c268, v89
	v_mul_f32_e32 v84, 0x3f7e222b, v84
	v_add_f32_e32 v111, v119, v111
	v_mul_f32_e32 v119, 0xbf3f9e67, v51
	v_add_f32_e32 v89, v122, v115
	v_fma_f32 v122, 0xbf3f9e67, v52, -v127
	v_mul_f32_e32 v130, 0x3df6dbef, v53
	v_fma_f32 v45, 0xbeb58ec6, v52, -v45
	v_fmamk_f32 v129, v58, 0x3f29c268, v119
	v_fmac_f32_e32 v119, 0xbf29c268, v58
	v_add_f32_e32 v122, v3, v122
	v_fma_f32 v131, 0x3df6dbef, v54, -v84
	v_mul_f32_e32 v132, 0xbf52af12, v88
	v_mul_f32_e32 v133, 0x3f116cb1, v55
	v_add_f32_e32 v88, v2, v119
	v_fmamk_f32 v119, v62, 0xbf7e222b, v130
	v_fmac_f32_e32 v130, 0x3f7e222b, v62
	v_add_f32_e32 v45, v3, v45
	v_fma_f32 v102, 0xbf3f9e67, v54, -v102
	v_mul_f32_e32 v124, 0x3df6dbef, v66
	v_add_f32_e32 v122, v131, v122
	v_fma_f32 v131, 0x3f116cb1, v56, -v132
	v_mul_f32_e32 v91, 0x3e750f2a, v91
	v_add_f32_e32 v88, v130, v88
	v_fmamk_f32 v130, v63, 0x3f52af12, v133
	v_fmac_f32_e32 v133, 0xbf52af12, v63
	v_mul_f32_e32 v134, 0xbf788fa5, v57
	v_fmac_f32_e32 v112, 0xbe750f2a, v58
	v_fmac_f32_e32 v120, 0x3eedf032, v62
	;; [unrolled: 1-line block ×3, first 2 shown]
	v_add_f32_e32 v45, v102, v45
	v_fma_f32 v58, 0x3f62ad3f, v56, -v104
	v_fmac_f32_e32 v103, 0x3f29c268, v62
	v_mul_f32_e32 v62, 0x3df6dbef, v52
	v_fmamk_f32 v115, v79, 0xbf7e222b, v124
	v_add_f32_e32 v122, v122, v131
	v_fma_f32 v131, 0xbf788fa5, v59, -v91
	v_mul_f32_e32 v135, 0x3eedf032, v97
	v_add_f32_e32 v97, v88, v133
	v_fmamk_f32 v133, v70, 0xbe750f2a, v134
	v_fmac_f32_e32 v134, 0x3e750f2a, v70
	v_mul_f32_e32 v136, 0x3f62ad3f, v64
	v_add_f32_e32 v45, v45, v58
	v_mul_f32_e32 v58, 0xbf788fa5, v54
	v_sub_f32_e32 v62, v62, v94
	v_add_f32_e32 v88, v115, v111
	v_add_f32_e32 v111, v131, v122
	v_fma_f32 v115, 0x3f62ad3f, v65, -v135
	v_add_f32_e32 v97, v134, v97
	v_fmamk_f32 v122, v76, 0xbeedf032, v136
	v_fmac_f32_e32 v136, 0x3eedf032, v76
	v_mul_f32_e32 v131, 0xbf6f5d39, v98
	v_fmamk_f32 v98, v52, 0xbf3f9e67, v127
	v_sub_f32_e32 v58, v58, v96
	v_add_f32_e32 v62, v3, v62
	v_mul_f32_e32 v96, 0xbeb58ec6, v56
	v_add_f32_e32 v111, v115, v111
	v_add_f32_e32 v97, v136, v97
	v_fma_f32 v115, 0xbeb58ec6, v69, -v131
	v_add_f32_e32 v136, v3, v98
	v_fmamk_f32 v84, v54, 0x3df6dbef, v84
	v_fma_f32 v108, 0xbf788fa5, v52, -v108
	v_fmac_f32_e32 v123, 0xbf29c268, v63
	v_fmac_f32_e32 v125, 0xbf6f5d39, v76
	v_fmac_f32_e32 v105, 0x3eedf032, v63
	v_fma_f32 v63, 0x3df6dbef, v59, -v106
	v_add_f32_e32 v58, v58, v62
	v_sub_f32_e32 v62, v96, v95
	v_fmac_f32_e32 v110, 0x3e750f2a, v76
	v_mul_f32_e32 v76, 0x3f62ad3f, v59
	v_add_f32_e32 v98, v115, v111
	v_add_f32_e32 v84, v84, v136
	v_fmamk_f32 v115, v56, 0x3f116cb1, v132
	v_add_f32_e32 v108, v3, v108
	v_fma_f32 v116, 0x3f62ad3f, v54, -v116
	v_add_f32_e32 v101, v2, v101
	v_add_f32_e32 v45, v63, v45
	v_mul_f32_e32 v63, 0x3f62ad3f, v51
	v_add_f32_e32 v58, v58, v62
	v_mul_f32_e32 v62, 0x3f116cb1, v51
	v_fma_f32 v95, 0xbf788fa5, v65, -v107
	v_mul_f32_e32 v51, 0x3df6dbef, v51
	v_sub_f32_e32 v76, v76, v93
	v_add_f32_e32 v84, v84, v115
	v_fmamk_f32 v91, v59, 0xbf788fa5, v91
	v_add_f32_e32 v108, v116, v108
	v_fma_f32 v115, 0xbf3f9e67, v56, -v117
	v_add_f32_e32 v94, v103, v101
	v_mul_f32_e32 v93, 0x3f116cb1, v53
	v_add_f32_e32 v95, v95, v45
	v_mul_f32_e32 v45, 0x3f116cb1, v65
	;; [unrolled: 2-line block ×3, first 2 shown]
	v_mul_f32_e32 v53, 0xbf788fa5, v53
	v_add_f32_e32 v51, v83, v51
	v_add_f32_e32 v84, v91, v84
	;; [unrolled: 1-line block ×3, first 2 shown]
	v_fmamk_f32 v112, v65, 0x3f62ad3f, v135
	v_add_f32_e32 v108, v108, v115
	v_fma_f32 v115, 0x3f116cb1, v59, -v121
	v_add_f32_e32 v94, v94, v105
	v_fmac_f32_e32 v109, 0xbf7e222b, v70
	v_sub_f32_e32 v45, v45, v92
	v_mul_f32_e32 v92, 0x3df6dbef, v55
	v_add_f32_e32 v53, v87, v53
	v_mul_f32_e32 v87, 0xbf788fa5, v55
	v_mul_f32_e32 v55, 0xbeb58ec6, v55
	v_add_f32_e32 v51, v2, v51
	v_mul_f32_e32 v134, 0xbeb58ec6, v66
	v_add_f32_e32 v84, v112, v84
	v_add_f32_e32 v108, v115, v108
	v_fma_f32 v112, 0xbeb58ec6, v65, -v118
	v_fmac_f32_e32 v126, 0x3f52af12, v70
	v_add_f32_e32 v70, v109, v94
	v_mul_f32_e32 v94, 0x3f62ad3f, v52
	v_mul_f32_e32 v52, 0x3f116cb1, v52
	v_add_f32_e32 v58, v45, v58
	v_add_f32_e32 v45, v53, v51
	v_mul_f32_e32 v51, 0xbf3f9e67, v69
	v_add_f32_e32 v53, v86, v55
	v_mul_f32_e32 v55, 0x3f62ad3f, v57
	v_fmamk_f32 v127, v79, 0x3f6f5d39, v134
	v_fmac_f32_e32 v134, 0xbf6f5d39, v79
	v_add_f32_e32 v108, v112, v108
	v_mul_f32_e32 v96, 0x3f116cb1, v54
	v_mul_f32_e32 v54, 0xbeb58ec6, v54
	v_fmac_f32_e32 v124, 0x3f7e222b, v79
	v_fmac_f32_e32 v114, 0x3f52af12, v79
	v_mul_f32_e32 v79, 0xbeb58ec6, v57
	v_mul_f32_e32 v86, 0xbf3f9e67, v57
	v_sub_f32_e32 v57, v51, v90
	v_add_f32_e32 v102, v45, v53
	v_add_f32_e32 v85, v85, v55
	v_sub_f32_e32 v45, v52, v78
	v_add_f32_e32 v62, v72, v62
	v_fmamk_f32 v51, v69, 0xbeb58ec6, v131
	v_fma_f32 v53, 0x3df6dbef, v69, -v128
	v_fma_f32 v55, 0x3f116cb1, v69, -v113
	v_sub_f32_e32 v54, v54, v80
	v_add_f32_e32 v80, v3, v45
	v_add_f32_e32 v45, v51, v84
	;; [unrolled: 1-line block ×9, first 2 shown]
	v_mul_f32_e32 v104, 0x3df6dbef, v64
	v_add_f32_e32 v111, v2, v129
	v_add_f32_e32 v57, v58, v57
	v_add_f32_e32 v58, v71, v87
	v_add_f32_e32 v11, v9, v11
	v_add_f32_e32 v8, v8, v10
	v_add_f32_e32 v10, v60, v104
	v_mul_f32_e32 v83, 0x3df6dbef, v56
	v_add_f32_e32 v57, v57, v58
	v_add_f32_e32 v58, v73, v86
	;; [unrolled: 1-line block ×4, first 2 shown]
	v_mul_f32_e32 v56, 0xbf788fa5, v56
	v_mul_f32_e32 v101, 0xbeb58ec6, v59
	v_add_f32_e32 v57, v58, v57
	v_add_f32_e32 v11, v11, v37
	;; [unrolled: 1-line block ×4, first 2 shown]
	v_mul_f32_e32 v59, 0xbf3f9e67, v59
	v_add_f32_e32 v12, v10, v57
	v_sub_f32_e32 v10, v94, v39
	v_add_f32_e32 v11, v11, v35
	v_add_f32_e32 v8, v8, v34
	;; [unrolled: 1-line block ×5, first 2 shown]
	v_sub_f32_e32 v10, v96, v41
	v_add_f32_e32 v8, v8, v32
	v_add_f32_e32 v32, v42, v92
	;; [unrolled: 1-line block ×7, first 2 shown]
	v_sub_f32_e32 v11, v83, v43
	v_sub_f32_e32 v56, v56, v74
	v_add_f32_e32 v91, v120, v91
	v_add_f32_e32 v10, v10, v31
	;; [unrolled: 1-line block ×4, first 2 shown]
	v_mul_f32_e32 v90, 0xbf3f9e67, v64
	v_mul_f32_e32 v103, 0xbf3f9e67, v65
	v_add_f32_e32 v10, v10, v21
	v_add_f32_e32 v3, v3, v11
	v_sub_f32_e32 v11, v101, v46
	v_add_f32_e32 v2, v2, v32
	v_add_f32_e32 v20, v44, v79
	;; [unrolled: 1-line block ×4, first 2 shown]
	v_mul_f32_e32 v65, 0x3df6dbef, v65
	v_mul_f32_e32 v64, 0x3f116cb1, v64
	v_add_f32_e32 v54, v54, v56
	v_sub_f32_e32 v56, v59, v75
	v_add_f32_e32 v91, v91, v123
	v_add_f32_e32 v111, v111, v130
	v_mul_f32_e32 v52, 0xbf788fa5, v66
	v_mul_f32_e32 v78, 0xbf788fa5, v69
	v_add_f32_e32 v3, v11, v3
	v_sub_f32_e32 v11, v103, v48
	v_add_f32_e32 v2, v20, v2
	v_add_f32_e32 v18, v47, v90
	;; [unrolled: 1-line block ×4, first 2 shown]
	v_mul_f32_e32 v72, 0x3f62ad3f, v66
	v_mul_f32_e32 v69, 0x3f62ad3f, v69
	;; [unrolled: 1-line block ×3, first 2 shown]
	v_add_f32_e32 v62, v85, v102
	v_add_f32_e32 v64, v81, v64
	;; [unrolled: 1-line block ×3, first 2 shown]
	v_sub_f32_e32 v56, v65, v77
	v_add_f32_e32 v91, v126, v91
	v_add_f32_e32 v111, v133, v111
	;; [unrolled: 1-line block ×3, first 2 shown]
	v_sub_f32_e32 v11, v78, v50
	v_add_f32_e32 v2, v18, v2
	v_add_f32_e32 v18, v49, v52
	;; [unrolled: 1-line block ×4, first 2 shown]
	v_mul_u32_u24_e32 v16, 0x68, v26
	v_add_f32_e32 v59, v64, v62
	v_add_f32_e32 v62, v82, v66
	;; [unrolled: 1-line block ×3, first 2 shown]
	v_sub_f32_e32 v64, v69, v67
	v_add_f32_e32 v13, v61, v72
	v_add_f32_e32 v70, v110, v70
	v_add_f32_e32 v91, v125, v91
	v_add_f32_e32 v111, v122, v111
	v_add_f32_e32 v3, v11, v3
	v_add_f32_e32 v2, v18, v2
	v_add_f32_e32 v11, v15, v10
	v_add_f32_e32 v10, v14, v8
	v_add3_u32 v14, 0, v16, v27
	v_add_f32_e32 v54, v62, v59
	v_add_f32_e32 v9, v64, v56
	;; [unrolled: 1-line block ×7, first 2 shown]
	ds_write2_b64 v14, v[10:11], v[2:3] offset1:1
	ds_write2_b64 v14, v[8:9], v[54:55] offset0:2 offset1:3
	ds_write2_b64 v14, v[52:53], v[97:98] offset0:4 offset1:5
	;; [unrolled: 1-line block ×5, first 2 shown]
	ds_write_b64 v14, v[0:1] offset:96
.LBB0_13:
	s_or_b32 exec_lo, exec_lo, s1
	v_and_b32_e32 v2, 0xff, v26
	v_add_nc_u32_e32 v34, 0x5b, v26
	v_add_nc_u32_e32 v3, 0x16c, v26
	;; [unrolled: 1-line block ×4, first 2 shown]
	v_mul_lo_u16 v39, 0x4f, v2
	v_mov_b32_e32 v2, 0x4ec5
	v_and_b32_e32 v8, 0xff, v34
	v_mov_b32_e32 v38, 3
	s_load_dwordx2 s[2:3], s[2:3], 0x0
	v_lshrrev_b16 v10, 10, v39
	v_mul_u32_u24_sdwa v9, v3, v2 dst_sel:DWORD dst_unused:UNUSED_PAD src0_sel:WORD_0 src1_sel:DWORD
	v_mul_lo_u16 v37, 0x4f, v8
	s_waitcnt lgkmcnt(0)
	s_barrier
	v_mul_lo_u16 v8, v10, 13
	v_lshrrev_b32_e32 v23, 18, v9
	v_mul_u32_u24_sdwa v9, v11, v2 dst_sel:DWORD dst_unused:UNUSED_PAD src0_sel:WORD_0 src1_sel:DWORD
	v_mul_u32_u24_sdwa v2, v12, v2 dst_sel:DWORD dst_unused:UNUSED_PAD src0_sel:WORD_0 src1_sel:DWORD
	v_lshrrev_b16 v53, 10, v37
	v_sub_nc_u16 v8, v26, v8
	v_mul_lo_u16 v13, v23, 13
	v_lshrrev_b32_e32 v54, 18, v9
	v_lshrrev_b32_e32 v55, 18, v2
	v_mul_lo_u16 v2, v53, 13
	v_lshlrev_b32_sdwa v56, v38, v8 dst_sel:DWORD dst_unused:UNUSED_PAD src0_sel:DWORD src1_sel:BYTE_0
	v_sub_nc_u16 v3, v3, v13
	v_mul_lo_u16 v9, v54, 13
	v_mul_lo_u16 v13, v55, 13
	v_sub_nc_u16 v2, v34, v2
	buffer_gl0_inv
	v_lshlrev_b32_sdwa v57, v38, v3 dst_sel:DWORD dst_unused:UNUSED_PAD src0_sel:DWORD src1_sel:WORD_0
	v_sub_nc_u16 v3, v11, v9
	v_sub_nc_u16 v11, v12, v13
	global_load_dwordx2 v[8:9], v56, s[12:13]
	v_lshlrev_b32_sdwa v58, v38, v2 dst_sel:DWORD dst_unused:UNUSED_PAD src0_sel:DWORD src1_sel:BYTE_0
	global_load_dwordx2 v[30:31], v57, s[12:13]
	v_lshlrev_b32_sdwa v59, v38, v3 dst_sel:DWORD dst_unused:UNUSED_PAD src0_sel:DWORD src1_sel:WORD_0
	v_lshlrev_b32_sdwa v60, v38, v11 dst_sel:DWORD dst_unused:UNUSED_PAD src0_sel:DWORD src1_sel:WORD_0
	s_clause 0x2
	global_load_dwordx2 v[32:33], v58, s[12:13]
	global_load_dwordx2 v[45:46], v59, s[12:13]
	global_load_dwordx2 v[47:48], v60, s[12:13]
	v_lshlrev_b32_e32 v3, 3, v26
	v_and_b32_e32 v10, 0xffff, v10
	v_mad_u32_u24 v23, 0xd0, v23, 0
	v_and_b32_e32 v53, 0xffff, v53
	v_mad_u32_u24 v54, 0xd0, v54, 0
	v_add3_u32 v36, 0, v3, v27
	v_add3_u32 v35, 0, v27, v3
	v_mad_u32_u24 v10, 0xd0, v10, 0
	v_add3_u32 v23, v23, v57, v27
	v_mad_u32_u24 v53, 0xd0, v53, 0
	v_add_nc_u32_e32 v2, 0xc00, v36
	ds_read2_b64 v[11:14], v36 offset0:91 offset1:182
	v_add_nc_u32_e32 v19, 0x1000, v36
	ds_read2_b64 v[15:18], v2 offset0:71 offset1:162
	ds_read_b64 v[49:50], v35
	ds_read_b64 v[51:52], v36 offset:6552
	v_add_nc_u32_e32 v3, 0x800, v36
	ds_read2_b64 v[19:22], v19 offset0:125 offset1:216
	ds_read2_b64 v[41:44], v3 offset0:17 offset1:108
	v_add3_u32 v56, v10, v56, v27
	v_mad_u32_u24 v55, 0xd0, v55, 0
	v_add_nc_u32_e32 v61, 0x400, v36
	v_add3_u32 v53, v53, v58, v27
	v_add3_u32 v54, v54, v59, v27
	v_add_nc_u32_e32 v40, 0x1400, v36
	v_add3_u32 v55, v55, v60, v27
	s_waitcnt vmcnt(0) lgkmcnt(0)
	s_barrier
	buffer_gl0_inv
	v_cmp_gt_u32_e64 s0, 39, v26
	v_mul_f32_e32 v10, v9, v16
	v_mul_f32_e32 v9, v9, v15
	;; [unrolled: 1-line block ×4, first 2 shown]
	v_fmac_f32_e32 v10, v8, v15
	v_fma_f32 v8, v8, v16, -v9
	v_mul_f32_e32 v9, v33, v18
	v_mul_f32_e32 v15, v33, v17
	;; [unrolled: 1-line block ×6, first 2 shown]
	v_fmac_f32_e32 v9, v32, v17
	v_fma_f32 v32, v32, v18, -v15
	v_fmac_f32_e32 v33, v45, v19
	v_fma_f32 v45, v45, v20, -v16
	v_fmac_f32_e32 v46, v47, v21
	v_sub_f32_e32 v15, v49, v10
	v_fma_f32 v10, v47, v22, -v48
	v_fmac_f32_e32 v57, v30, v51
	v_fma_f32 v31, v30, v52, -v31
	v_sub_f32_e32 v16, v50, v8
	v_sub_f32_e32 v19, v11, v9
	;; [unrolled: 1-line block ×9, first 2 shown]
	v_fma_f32 v17, v49, 2.0, -v15
	v_fma_f32 v18, v50, 2.0, -v16
	;; [unrolled: 1-line block ×10, first 2 shown]
	ds_write2_b64 v56, v[17:18], v[15:16] offset1:13
	ds_write2_b64 v53, v[32:33], v[19:20] offset1:13
	;; [unrolled: 1-line block ×5, first 2 shown]
	s_waitcnt lgkmcnt(0)
	s_barrier
	buffer_gl0_inv
	ds_read_b64 v[32:33], v35
	ds_read2_b64 v[20:23], v61 offset0:2 offset1:132
	ds_read2_b64 v[16:19], v2 offset0:6 offset1:136
	;; [unrolled: 1-line block ×3, first 2 shown]
	s_and_saveexec_b32 s1, s0
	s_cbranch_execz .LBB0_15
; %bb.14:
	ds_read2_b64 v[8:11], v36 offset0:91 offset1:221
	ds_read2_b32 v[30:31], v3 offset0:190 offset1:191
	ds_read2_b64 v[4:7], v2 offset0:97 offset1:227
	ds_read2_b64 v[0:3], v40 offset0:101 offset1:231
.LBB0_15:
	s_or_b32 exec_lo, exec_lo, s1
	v_lshrrev_b16 v52, 11, v39
	v_mov_b32_e32 v39, 6
	v_mul_lo_u16 v40, v52, 26
	v_and_b32_e32 v52, 0xffff, v52
	v_sub_nc_u16 v53, v26, v40
	v_mad_u32_u24 v52, 0x5b0, v52, 0
	v_mul_u32_u24_sdwa v40, v53, v39 dst_sel:DWORD dst_unused:UNUSED_PAD src0_sel:BYTE_0 src1_sel:DWORD
	v_lshlrev_b32_sdwa v38, v38, v53 dst_sel:DWORD dst_unused:UNUSED_PAD src0_sel:DWORD src1_sel:BYTE_0
	v_lshlrev_b32_e32 v48, 3, v40
	v_add3_u32 v38, v52, v38, v27
	s_clause 0x2
	global_load_dwordx4 v[40:43], v48, s[12:13] offset:104
	global_load_dwordx4 v[44:47], v48, s[12:13] offset:120
	;; [unrolled: 1-line block ×3, first 2 shown]
	s_waitcnt vmcnt(0) lgkmcnt(0)
	s_barrier
	buffer_gl0_inv
	v_mul_f32_e32 v52, v41, v21
	v_mul_f32_e32 v41, v41, v20
	;; [unrolled: 1-line block ×12, first 2 shown]
	v_fmac_f32_e32 v52, v40, v20
	v_fma_f32 v20, v40, v21, -v41
	v_fmac_f32_e32 v53, v42, v22
	v_fma_f32 v21, v42, v23, -v43
	;; [unrolled: 2-line block ×6, first 2 shown]
	v_add_f32_e32 v13, v52, v57
	v_add_f32_e32 v17, v20, v14
	v_sub_f32_e32 v14, v20, v14
	v_add_f32_e32 v19, v53, v56
	v_add_f32_e32 v20, v21, v12
	v_sub_f32_e32 v22, v53, v56
	v_sub_f32_e32 v12, v21, v12
	v_add_f32_e32 v21, v54, v55
	v_add_f32_e32 v23, v16, v15
	v_sub_f32_e32 v40, v55, v54
	;; [unrolled: 4-line block ×3, first 2 shown]
	v_sub_f32_e32 v42, v19, v13
	v_sub_f32_e32 v43, v20, v17
	v_sub_f32_e32 v13, v13, v21
	v_sub_f32_e32 v17, v17, v23
	v_sub_f32_e32 v19, v21, v19
	v_sub_f32_e32 v20, v23, v20
	v_add_f32_e32 v44, v40, v22
	v_add_f32_e32 v45, v15, v12
	v_sub_f32_e32 v46, v40, v22
	v_sub_f32_e32 v47, v15, v12
	;; [unrolled: 1-line block ×3, first 2 shown]
	v_add_f32_e32 v16, v21, v16
	v_add_f32_e32 v21, v23, v41
	v_sub_f32_e32 v22, v22, v18
	v_sub_f32_e32 v40, v18, v40
	;; [unrolled: 1-line block ×3, first 2 shown]
	v_add_f32_e32 v18, v44, v18
	v_add_f32_e32 v14, v45, v14
	v_mul_f32_e32 v23, 0x3f4a47b2, v13
	v_mul_f32_e32 v17, 0x3f4a47b2, v17
	;; [unrolled: 1-line block ×7, first 2 shown]
	v_add_f32_e32 v12, v16, v32
	v_add_f32_e32 v13, v21, v33
	v_mul_f32_e32 v47, 0xbf5ff5aa, v22
	v_fmamk_f32 v19, v19, 0x3d64c772, v23
	v_fmamk_f32 v20, v20, 0x3d64c772, v17
	v_fma_f32 v32, 0x3f3bfb3b, v42, -v41
	v_fma_f32 v33, 0x3f3bfb3b, v43, -v44
	;; [unrolled: 1-line block ×3, first 2 shown]
	v_fmamk_f32 v41, v40, 0xbeae86e6, v45
	v_fmamk_f32 v42, v15, 0xbeae86e6, v46
	v_fma_f32 v44, 0x3eae86e6, v15, -v49
	v_fmamk_f32 v15, v16, 0xbf955555, v12
	v_fmamk_f32 v16, v21, 0xbf955555, v13
	v_fma_f32 v17, 0xbf3bfb3b, v43, -v17
	v_fma_f32 v22, 0xbf5ff5aa, v22, -v45
	v_fma_f32 v43, 0xbf5ff5aa, v48, -v46
	v_fma_f32 v40, 0x3eae86e6, v40, -v47
	v_fmac_f32_e32 v41, 0xbee1c552, v18
	v_fmac_f32_e32 v42, 0xbee1c552, v14
	v_add_f32_e32 v45, v19, v15
	v_add_f32_e32 v46, v20, v16
	v_fmac_f32_e32 v22, 0xbee1c552, v18
	v_fmac_f32_e32 v43, 0xbee1c552, v14
	;; [unrolled: 1-line block ×4, first 2 shown]
	v_add_f32_e32 v20, v32, v15
	v_add_f32_e32 v23, v23, v15
	;; [unrolled: 1-line block ×5, first 2 shown]
	v_sub_f32_e32 v15, v46, v41
	v_add_f32_e32 v16, v44, v23
	v_sub_f32_e32 v17, v32, v40
	v_sub_f32_e32 v18, v20, v43
	v_add_f32_e32 v19, v22, v21
	v_add_f32_e32 v20, v43, v20
	v_sub_f32_e32 v21, v21, v22
	v_sub_f32_e32 v22, v23, v44
	v_add_f32_e32 v23, v40, v32
	v_sub_f32_e32 v32, v45, v42
	v_add_f32_e32 v33, v41, v46
	ds_write2_b64 v38, v[12:13], v[14:15] offset1:26
	ds_write2_b64 v38, v[16:17], v[18:19] offset0:52 offset1:78
	ds_write2_b64 v38, v[20:21], v[22:23] offset0:104 offset1:130
	ds_write_b64 v38, v[32:33] offset:1248
	s_and_saveexec_b32 s1, s0
	s_cbranch_execz .LBB0_17
; %bb.16:
	v_lshrrev_b16 v32, 11, v37
	v_mov_b32_e32 v37, 3
	v_mul_lo_u16 v12, v32, 26
	v_and_b32_e32 v32, 0xffff, v32
	v_sub_nc_u16 v33, v34, v12
	v_mad_u32_u24 v32, 0x5b0, v32, 0
	v_mul_u32_u24_sdwa v12, v33, v39 dst_sel:DWORD dst_unused:UNUSED_PAD src0_sel:BYTE_0 src1_sel:DWORD
	v_lshlrev_b32_sdwa v33, v37, v33 dst_sel:DWORD dst_unused:UNUSED_PAD src0_sel:DWORD src1_sel:BYTE_0
	v_lshlrev_b32_e32 v20, 3, v12
	v_add3_u32 v27, v32, v33, v27
	s_clause 0x2
	global_load_dwordx4 v[12:15], v20, s[12:13] offset:104
	global_load_dwordx4 v[16:19], v20, s[12:13] offset:136
	;; [unrolled: 1-line block ×3, first 2 shown]
	s_waitcnt vmcnt(2)
	v_mul_f32_e32 v32, v11, v13
	s_waitcnt vmcnt(1)
	v_mul_f32_e32 v33, v3, v19
	;; [unrolled: 2-line block ×3, first 2 shown]
	v_mul_f32_e32 v39, v31, v15
	v_mul_f32_e32 v40, v1, v17
	;; [unrolled: 1-line block ×9, first 2 shown]
	v_fmac_f32_e32 v32, v10, v12
	v_fmac_f32_e32 v33, v2, v18
	;; [unrolled: 1-line block ×4, first 2 shown]
	v_fma_f32 v0, v3, v18, -v19
	v_fma_f32 v2, v11, v12, -v13
	;; [unrolled: 1-line block ×5, first 2 shown]
	v_fmac_f32_e32 v37, v6, v22
	v_fmac_f32_e32 v38, v4, v20
	v_fma_f32 v4, v7, v22, -v23
	v_add_f32_e32 v11, v2, v0
	v_add_f32_e32 v13, v5, v1
	v_add_f32_e32 v14, v32, v33
	v_add_f32_e32 v16, v39, v40
	v_sub_f32_e32 v6, v32, v33
	v_sub_f32_e32 v7, v37, v38
	;; [unrolled: 1-line block ×3, first 2 shown]
	v_add_f32_e32 v12, v3, v4
	v_add_f32_e32 v15, v38, v37
	v_sub_f32_e32 v0, v2, v0
	v_sub_f32_e32 v2, v4, v3
	;; [unrolled: 1-line block ×3, first 2 shown]
	v_add_f32_e32 v18, v13, v11
	v_add_f32_e32 v21, v16, v14
	v_sub_f32_e32 v3, v6, v7
	v_sub_f32_e32 v4, v7, v10
	v_add_f32_e32 v5, v7, v10
	v_sub_f32_e32 v7, v11, v12
	v_sub_f32_e32 v17, v12, v13
	;; [unrolled: 1-line block ×6, first 2 shown]
	v_add_f32_e32 v2, v2, v1
	v_sub_f32_e32 v10, v10, v6
	v_sub_f32_e32 v11, v13, v11
	v_sub_f32_e32 v13, v16, v14
	v_sub_f32_e32 v14, v1, v0
	v_add_f32_e32 v12, v12, v18
	v_add_f32_e32 v15, v15, v21
	v_mul_f32_e32 v4, 0x3f08b237, v4
	v_add_f32_e32 v5, v5, v6
	v_mul_f32_e32 v6, 0x3f4a47b2, v7
	v_mul_f32_e32 v7, 0x3d64c772, v17
	;; [unrolled: 1-line block ×4, first 2 shown]
	v_add_f32_e32 v2, v2, v0
	v_mul_f32_e32 v21, 0xbf5ff5aa, v10
	v_mul_f32_e32 v23, 0xbf5ff5aa, v14
	v_add_f32_e32 v1, v9, v12
	v_add_f32_e32 v0, v8, v15
	v_mul_f32_e32 v18, 0x3d64c772, v20
	v_fmamk_f32 v30, v3, 0xbeae86e6, v4
	v_fmamk_f32 v17, v17, 0x3d64c772, v6
	;; [unrolled: 1-line block ×4, first 2 shown]
	v_fma_f32 v21, 0x3eae86e6, v3, -v21
	v_fma_f32 v3, 0xbf3bfb3b, v11, -v6
	;; [unrolled: 1-line block ×7, first 2 shown]
	v_fmamk_f32 v10, v12, 0xbf955555, v1
	v_fmamk_f32 v11, v15, 0xbf955555, v0
	v_fma_f32 v4, 0x3f3bfb3b, v13, -v18
	v_fmac_f32_e32 v30, 0xbee1c552, v5
	v_fmac_f32_e32 v20, 0xbee1c552, v2
	;; [unrolled: 1-line block ×5, first 2 shown]
	v_add_f32_e32 v2, v17, v10
	v_add_f32_e32 v15, v9, v11
	;; [unrolled: 1-line block ×3, first 2 shown]
	v_fmac_f32_e32 v8, 0xbee1c552, v5
	v_add_f32_e32 v6, v6, v11
	v_add_f32_e32 v9, v7, v10
	;; [unrolled: 1-line block ×4, first 2 shown]
	v_sub_f32_e32 v11, v12, v21
	v_sub_f32_e32 v13, v2, v30
	v_add_f32_e32 v12, v20, v15
	v_sub_f32_e32 v7, v9, v8
	v_add_f32_e32 v9, v8, v9
	;; [unrolled: 2-line block ×4, first 2 shown]
	v_add_f32_e32 v3, v30, v2
	v_sub_f32_e32 v2, v15, v20
	ds_write2_b64 v27, v[0:1], v[12:13] offset1:26
	ds_write2_b64 v27, v[10:11], v[8:9] offset0:52 offset1:78
	ds_write2_b64 v27, v[6:7], v[4:5] offset0:104 offset1:130
	ds_write_b64 v27, v[2:3] offset:1248
.LBB0_17:
	s_or_b32 exec_lo, exec_lo, s1
	s_waitcnt lgkmcnt(0)
	s_barrier
	buffer_gl0_inv
	s_and_saveexec_b32 s0, vcc_lo
	s_cbranch_execz .LBB0_19
; %bb.18:
	v_lshlrev_b32_e32 v37, 2, v34
	v_mov_b32_e32 v38, 0
	v_mul_lo_u32 v20, s3, v28
	v_mul_lo_u32 v21, s2, v29
	v_mad_u64_u32 v[28:29], null, s2, v28, 0
	v_lshlrev_b64 v[0:1], 3, v[37:38]
	v_lshlrev_b32_e32 v37, 2, v26
	v_add_nc_u32_e32 v22, 0x800, v36
	v_add_nc_u32_e32 v30, 0xc00, v36
	v_lshrrev_b32_e32 v31, 1, v34
	v_add_nc_u32_e32 v32, 0x1000, v36
	v_lshlrev_b64 v[8:9], 3, v[37:38]
	v_add_co_u32 v4, vcc_lo, s12, v0
	v_add_co_ci_u32_e32 v5, vcc_lo, s13, v1, vcc_lo
	v_add3_u32 v29, v29, v21, v20
	v_add_co_u32 v12, vcc_lo, s12, v8
	s_clause 0x1
	global_load_dwordx4 v[0:3], v[4:5], off offset:1352
	global_load_dwordx4 v[4:7], v[4:5], off offset:1368
	v_add_co_ci_u32_e32 v13, vcc_lo, s13, v9, vcc_lo
	s_clause 0x1
	global_load_dwordx4 v[8:11], v[12:13], off offset:1352
	global_load_dwordx4 v[12:15], v[12:13], off offset:1368
	ds_read2_b64 v[16:19], v36 offset0:91 offset1:182
	ds_read_b64 v[39:40], v36 offset:6552
	ds_read_b64 v[41:42], v35
	ds_read2_b64 v[20:23], v22 offset0:17 offset1:108
	v_lshlrev_b64 v[36:37], 3, v[28:29]
	v_mul_hi_u32 v43, 0xb40b40b5, v31
	ds_read2_b64 v[28:31], v30 offset0:71 offset1:162
	ds_read2_b64 v[32:35], v32 offset0:125 offset1:216
	v_lshlrev_b64 v[24:25], 3, v[24:25]
	v_mov_b32_e32 v27, v38
	v_add_co_u32 v36, vcc_lo, s10, v36
	v_add_co_ci_u32_e32 v37, vcc_lo, s11, v37, vcc_lo
	v_lshrrev_b32_e32 v43, 6, v43
	v_lshlrev_b64 v[26:27], 3, v[26:27]
	v_add_co_u32 v24, vcc_lo, v36, v24
	v_add_co_ci_u32_e32 v25, vcc_lo, v37, v25, vcc_lo
	v_mul_u32_u24_e32 v37, 0x2d8, v43
	v_add_co_u32 v24, vcc_lo, v24, v26
	v_add_co_ci_u32_e32 v25, vcc_lo, v25, v27, vcc_lo
	v_lshlrev_b64 v[26:27], 3, v[37:38]
	v_add_co_u32 v36, vcc_lo, 0x800, v24
	v_add_co_ci_u32_e32 v37, vcc_lo, 0, v25, vcc_lo
	v_add_co_u32 v26, vcc_lo, v24, v26
	v_add_co_ci_u32_e32 v27, vcc_lo, v25, v27, vcc_lo
	;; [unrolled: 2-line block ×7, first 2 shown]
	s_waitcnt vmcnt(3) lgkmcnt(2)
	v_mul_f32_e32 v38, v1, v20
	s_waitcnt lgkmcnt(1)
	v_mul_f32_e32 v53, v3, v28
	s_waitcnt vmcnt(2)
	v_mul_f32_e32 v54, v7, v39
	s_waitcnt lgkmcnt(0)
	v_mul_f32_e32 v55, v5, v32
	v_mul_f32_e32 v1, v1, v21
	;; [unrolled: 1-line block ×5, first 2 shown]
	v_fma_f32 v21, v0, v21, -v38
	v_fma_f32 v38, v2, v29, -v53
	;; [unrolled: 1-line block ×4, first 2 shown]
	v_fmac_f32_e32 v1, v0, v20
	v_fmac_f32_e32 v28, v29, v3
	s_waitcnt vmcnt(1)
	v_mul_f32_e32 v2, v11, v22
	s_waitcnt vmcnt(0)
	v_mul_f32_e32 v3, v15, v34
	v_mul_f32_e32 v4, v13, v30
	;; [unrolled: 1-line block ×5, first 2 shown]
	v_fmac_f32_e32 v39, v40, v7
	v_fmac_f32_e32 v32, v33, v5
	v_mul_f32_e32 v0, v9, v18
	v_mul_f32_e32 v5, v9, v19
	v_sub_f32_e32 v6, v21, v38
	v_add_f32_e32 v9, v38, v54
	v_sub_f32_e32 v56, v21, v53
	v_sub_f32_e32 v58, v38, v21
	v_add_f32_e32 v60, v21, v53
	v_add_f32_e32 v21, v21, v17
	;; [unrolled: 1-line block ×3, first 2 shown]
	v_fma_f32 v23, v10, v23, -v2
	v_fma_f32 v31, v12, v31, -v4
	v_fmac_f32_e32 v15, v10, v22
	v_fmac_f32_e32 v29, v12, v30
	v_sub_f32_e32 v11, v1, v28
	v_sub_f32_e32 v40, v39, v32
	;; [unrolled: 1-line block ×5, first 2 shown]
	v_fma_f32 v19, v8, v19, -v0
	v_fma_f32 v35, v14, v35, -v3
	v_fmac_f32_e32 v5, v8, v18
	v_fmac_f32_e32 v20, v14, v34
	v_add_f32_e32 v55, v28, v32
	v_add_f32_e32 v63, v1, v39
	v_sub_f32_e32 v13, v1, v39
	v_fma_f32 v1, -0.5, v9, v17
	v_fma_f32 v3, -0.5, v60, v17
	v_add_f32_e32 v8, v38, v21
	v_add_f32_e32 v9, v28, v64
	v_add_f32_e32 v12, v23, v31
	v_add_f32_e32 v17, v15, v29
	v_add_f32_e32 v22, v11, v40
	v_add_f32_e32 v30, v58, v59
	v_add_f32_e32 v34, v61, v62
	v_sub_f32_e32 v10, v19, v23
	v_sub_f32_e32 v11, v35, v31
	v_add_f32_e32 v59, v19, v35
	v_add_f32_e32 v62, v5, v20
	v_sub_f32_e32 v57, v38, v54
	v_fma_f32 v0, -0.5, v55, v16
	v_fma_f32 v2, -0.5, v63, v16
	v_sub_f32_e32 v38, v19, v35
	v_sub_f32_e32 v55, v23, v19
	v_add_f32_e32 v19, v19, v42
	v_add_f32_e32 v63, v5, v41
	v_sub_f32_e32 v7, v53, v54
	v_sub_f32_e32 v33, v28, v32
	;; [unrolled: 1-line block ×5, first 2 shown]
	v_add_f32_e32 v54, v54, v8
	v_add_f32_e32 v32, v32, v9
	v_fma_f32 v9, -0.5, v12, v42
	v_fma_f32 v8, -0.5, v17, v41
	v_sub_f32_e32 v28, v15, v29
	v_sub_f32_e32 v40, v23, v31
	v_add_f32_e32 v64, v10, v11
	v_fma_f32 v11, -0.5, v59, v42
	v_fma_f32 v10, -0.5, v62, v41
	v_sub_f32_e32 v60, v15, v5
	v_fmamk_f32 v5, v13, 0xbf737871, v1
	v_fmac_f32_e32 v1, 0x3f737871, v13
	v_add_f32_e32 v19, v23, v19
	v_add_f32_e32 v23, v15, v63
	;; [unrolled: 1-line block ×3, first 2 shown]
	v_fmamk_f32 v15, v21, 0xbf737871, v9
	v_fmamk_f32 v14, v38, 0x3f737871, v8
	v_fmac_f32_e32 v9, 0x3f737871, v21
	v_fmac_f32_e32 v8, 0xbf737871, v38
	v_sub_f32_e32 v58, v31, v35
	v_sub_f32_e32 v61, v29, v20
	v_fmamk_f32 v17, v28, 0x3f737871, v11
	v_fmamk_f32 v16, v40, 0xbf737871, v10
	v_fmac_f32_e32 v11, 0xbf737871, v28
	v_fmac_f32_e32 v10, 0x3f737871, v40
	v_add_f32_e32 v18, v6, v7
	v_fmamk_f32 v4, v56, 0x3f737871, v0
	v_fmamk_f32 v7, v33, 0x3f737871, v3
	;; [unrolled: 1-line block ×3, first 2 shown]
	v_fmac_f32_e32 v3, 0xbf737871, v33
	v_fmac_f32_e32 v2, 0x3f737871, v57
	;; [unrolled: 1-line block ×5, first 2 shown]
	v_add_f32_e32 v19, v19, v31
	v_add_f32_e32 v23, v23, v29
	v_fmac_f32_e32 v9, 0x3f167918, v28
	v_fmac_f32_e32 v8, 0xbf167918, v40
	v_add_f32_e32 v55, v55, v58
	v_add_f32_e32 v42, v60, v61
	v_fmac_f32_e32 v11, 0x3f167918, v21
	v_fmac_f32_e32 v10, 0xbf167918, v38
	;; [unrolled: 1-line block ×14, first 2 shown]
	v_add_f32_e32 v19, v35, v19
	v_add_f32_e32 v18, v20, v23
	v_fmac_f32_e32 v9, 0x3e9e377a, v64
	v_fmac_f32_e32 v8, 0x3e9e377a, v65
	v_fmac_f32_e32 v11, 0x3e9e377a, v55
	v_fmac_f32_e32 v10, 0x3e9e377a, v42
	v_fmac_f32_e32 v17, 0x3e9e377a, v55
	v_fmac_f32_e32 v16, 0x3e9e377a, v42
	v_fmac_f32_e32 v15, 0x3e9e377a, v64
	v_fmac_f32_e32 v14, 0x3e9e377a, v65
	v_add_f32_e32 v13, v53, v54
	v_add_f32_e32 v12, v39, v32
	v_fmac_f32_e32 v4, 0x3e9e377a, v22
	v_fmac_f32_e32 v7, 0x3e9e377a, v30
	;; [unrolled: 1-line block ×6, first 2 shown]
	global_store_dwordx2 v[24:25], v[18:19], off
	global_store_dwordx2 v[24:25], v[8:9], off offset:1456
	global_store_dwordx2 v[36:37], v[10:11], off offset:864
	;; [unrolled: 1-line block ×9, first 2 shown]
.LBB0_19:
	s_endpgm
	.section	.rodata,"a",@progbits
	.p2align	6, 0x0
	.amdhsa_kernel fft_rtc_back_len910_factors_13_2_7_5_wgs_182_tpt_91_sp_op_CI_CI_unitstride_sbrr_dirReg
		.amdhsa_group_segment_fixed_size 0
		.amdhsa_private_segment_fixed_size 0
		.amdhsa_kernarg_size 104
		.amdhsa_user_sgpr_count 6
		.amdhsa_user_sgpr_private_segment_buffer 1
		.amdhsa_user_sgpr_dispatch_ptr 0
		.amdhsa_user_sgpr_queue_ptr 0
		.amdhsa_user_sgpr_kernarg_segment_ptr 1
		.amdhsa_user_sgpr_dispatch_id 0
		.amdhsa_user_sgpr_flat_scratch_init 0
		.amdhsa_user_sgpr_private_segment_size 0
		.amdhsa_wavefront_size32 1
		.amdhsa_uses_dynamic_stack 0
		.amdhsa_system_sgpr_private_segment_wavefront_offset 0
		.amdhsa_system_sgpr_workgroup_id_x 1
		.amdhsa_system_sgpr_workgroup_id_y 0
		.amdhsa_system_sgpr_workgroup_id_z 0
		.amdhsa_system_sgpr_workgroup_info 0
		.amdhsa_system_vgpr_workitem_id 0
		.amdhsa_next_free_vgpr 137
		.amdhsa_next_free_sgpr 27
		.amdhsa_reserve_vcc 1
		.amdhsa_reserve_flat_scratch 0
		.amdhsa_float_round_mode_32 0
		.amdhsa_float_round_mode_16_64 0
		.amdhsa_float_denorm_mode_32 3
		.amdhsa_float_denorm_mode_16_64 3
		.amdhsa_dx10_clamp 1
		.amdhsa_ieee_mode 1
		.amdhsa_fp16_overflow 0
		.amdhsa_workgroup_processor_mode 1
		.amdhsa_memory_ordered 1
		.amdhsa_forward_progress 0
		.amdhsa_shared_vgpr_count 0
		.amdhsa_exception_fp_ieee_invalid_op 0
		.amdhsa_exception_fp_denorm_src 0
		.amdhsa_exception_fp_ieee_div_zero 0
		.amdhsa_exception_fp_ieee_overflow 0
		.amdhsa_exception_fp_ieee_underflow 0
		.amdhsa_exception_fp_ieee_inexact 0
		.amdhsa_exception_int_div_zero 0
	.end_amdhsa_kernel
	.text
.Lfunc_end0:
	.size	fft_rtc_back_len910_factors_13_2_7_5_wgs_182_tpt_91_sp_op_CI_CI_unitstride_sbrr_dirReg, .Lfunc_end0-fft_rtc_back_len910_factors_13_2_7_5_wgs_182_tpt_91_sp_op_CI_CI_unitstride_sbrr_dirReg
                                        ; -- End function
	.section	.AMDGPU.csdata,"",@progbits
; Kernel info:
; codeLenInByte = 8176
; NumSgprs: 29
; NumVgprs: 137
; ScratchSize: 0
; MemoryBound: 0
; FloatMode: 240
; IeeeMode: 1
; LDSByteSize: 0 bytes/workgroup (compile time only)
; SGPRBlocks: 3
; VGPRBlocks: 17
; NumSGPRsForWavesPerEU: 29
; NumVGPRsForWavesPerEU: 137
; Occupancy: 7
; WaveLimiterHint : 1
; COMPUTE_PGM_RSRC2:SCRATCH_EN: 0
; COMPUTE_PGM_RSRC2:USER_SGPR: 6
; COMPUTE_PGM_RSRC2:TRAP_HANDLER: 0
; COMPUTE_PGM_RSRC2:TGID_X_EN: 1
; COMPUTE_PGM_RSRC2:TGID_Y_EN: 0
; COMPUTE_PGM_RSRC2:TGID_Z_EN: 0
; COMPUTE_PGM_RSRC2:TIDIG_COMP_CNT: 0
	.text
	.p2alignl 6, 3214868480
	.fill 48, 4, 3214868480
	.type	__hip_cuid_405c2d838f60ea9e,@object ; @__hip_cuid_405c2d838f60ea9e
	.section	.bss,"aw",@nobits
	.globl	__hip_cuid_405c2d838f60ea9e
__hip_cuid_405c2d838f60ea9e:
	.byte	0                               ; 0x0
	.size	__hip_cuid_405c2d838f60ea9e, 1

	.ident	"AMD clang version 19.0.0git (https://github.com/RadeonOpenCompute/llvm-project roc-6.4.0 25133 c7fe45cf4b819c5991fe208aaa96edf142730f1d)"
	.section	".note.GNU-stack","",@progbits
	.addrsig
	.addrsig_sym __hip_cuid_405c2d838f60ea9e
	.amdgpu_metadata
---
amdhsa.kernels:
  - .args:
      - .actual_access:  read_only
        .address_space:  global
        .offset:         0
        .size:           8
        .value_kind:     global_buffer
      - .offset:         8
        .size:           8
        .value_kind:     by_value
      - .actual_access:  read_only
        .address_space:  global
        .offset:         16
        .size:           8
        .value_kind:     global_buffer
      - .actual_access:  read_only
        .address_space:  global
        .offset:         24
        .size:           8
        .value_kind:     global_buffer
      - .actual_access:  read_only
        .address_space:  global
        .offset:         32
        .size:           8
        .value_kind:     global_buffer
      - .offset:         40
        .size:           8
        .value_kind:     by_value
      - .actual_access:  read_only
        .address_space:  global
        .offset:         48
        .size:           8
        .value_kind:     global_buffer
      - .actual_access:  read_only
        .address_space:  global
        .offset:         56
        .size:           8
        .value_kind:     global_buffer
      - .offset:         64
        .size:           4
        .value_kind:     by_value
      - .actual_access:  read_only
        .address_space:  global
        .offset:         72
        .size:           8
        .value_kind:     global_buffer
      - .actual_access:  read_only
        .address_space:  global
        .offset:         80
        .size:           8
        .value_kind:     global_buffer
      - .actual_access:  read_only
        .address_space:  global
        .offset:         88
        .size:           8
        .value_kind:     global_buffer
      - .actual_access:  write_only
        .address_space:  global
        .offset:         96
        .size:           8
        .value_kind:     global_buffer
    .group_segment_fixed_size: 0
    .kernarg_segment_align: 8
    .kernarg_segment_size: 104
    .language:       OpenCL C
    .language_version:
      - 2
      - 0
    .max_flat_workgroup_size: 182
    .name:           fft_rtc_back_len910_factors_13_2_7_5_wgs_182_tpt_91_sp_op_CI_CI_unitstride_sbrr_dirReg
    .private_segment_fixed_size: 0
    .sgpr_count:     29
    .sgpr_spill_count: 0
    .symbol:         fft_rtc_back_len910_factors_13_2_7_5_wgs_182_tpt_91_sp_op_CI_CI_unitstride_sbrr_dirReg.kd
    .uniform_work_group_size: 1
    .uses_dynamic_stack: false
    .vgpr_count:     137
    .vgpr_spill_count: 0
    .wavefront_size: 32
    .workgroup_processor_mode: 1
amdhsa.target:   amdgcn-amd-amdhsa--gfx1030
amdhsa.version:
  - 1
  - 2
...

	.end_amdgpu_metadata
